;; amdgpu-corpus repo=ROCm/rocFFT kind=compiled arch=gfx1201 opt=O3
	.text
	.amdgcn_target "amdgcn-amd-amdhsa--gfx1201"
	.amdhsa_code_object_version 6
	.protected	fft_rtc_back_len343_factors_7_7_7_wgs_245_tpt_49_dp_op_CI_CI_sbcc_twdbase5_3step ; -- Begin function fft_rtc_back_len343_factors_7_7_7_wgs_245_tpt_49_dp_op_CI_CI_sbcc_twdbase5_3step
	.globl	fft_rtc_back_len343_factors_7_7_7_wgs_245_tpt_49_dp_op_CI_CI_sbcc_twdbase5_3step
	.p2align	8
	.type	fft_rtc_back_len343_factors_7_7_7_wgs_245_tpt_49_dp_op_CI_CI_sbcc_twdbase5_3step,@function
fft_rtc_back_len343_factors_7_7_7_wgs_245_tpt_49_dp_op_CI_CI_sbcc_twdbase5_3step: ; @fft_rtc_back_len343_factors_7_7_7_wgs_245_tpt_49_dp_op_CI_CI_sbcc_twdbase5_3step
; %bb.0:
	s_clause 0x1
	s_load_b256 s[4:11], s[0:1], 0x8
	s_load_b64 s[24:25], s[0:1], 0x28
	s_mov_b32 s2, ttmp9
	s_mov_b32 s3, exec_lo
	v_cmpx_gt_u32_e32 0x60, v0
	s_cbranch_execz .LBB0_2
; %bb.1:
	v_lshlrev_b32_e32 v5, 4, v0
	s_wait_kmcnt 0x0
	global_load_b128 v[1:4], v5, s[4:5]
	v_add3_u32 v5, 0, v5, 0x6b30
	s_wait_loadcnt 0x0
	ds_store_2addr_b64 v5, v[1:2], v[3:4] offset1:1
.LBB0_2:
	s_or_b32 exec_lo, exec_lo, s3
	s_mov_b32 s3, 0
	s_wait_kmcnt 0x0
	s_mov_b32 s4, 0x3330c000
	s_movk_i32 s5, 0xb3
	s_mov_b32 s12, s3
	s_mov_b32 s13, s3
	s_load_b64 s[26:27], s[8:9], 0x8
	s_add_nc_u64 s[4:5], s[12:13], s[4:5]
	s_mov_b32 s17, s3
	s_add_co_i32 s5, s5, 0x33333280
	s_mov_b64 s[20:21], 0
	s_mul_u64 s[12:13], s[4:5], -5
	s_delay_alu instid0(SALU_CYCLE_1)
	s_mul_hi_u32 s15, s4, s13
	s_mul_i32 s14, s4, s13
	s_mul_hi_u32 s16, s4, s12
	s_mul_hi_u32 s18, s5, s12
	s_mul_i32 s12, s5, s12
	s_add_nc_u64 s[14:15], s[16:17], s[14:15]
	s_mul_hi_u32 s16, s5, s13
	s_add_co_u32 s12, s14, s12
	s_add_co_ci_u32 s12, s15, s18
	s_add_co_ci_u32 s15, s16, 0
	s_mul_i32 s14, s5, s13
	s_mov_b32 s13, s3
	s_delay_alu instid0(SALU_CYCLE_1) | instskip(SKIP_3) | instid1(VALU_DEP_1)
	s_add_nc_u64 s[12:13], s[12:13], s[14:15]
	s_wait_kmcnt 0x0
	s_add_nc_u64 s[14:15], s[26:27], -1
	v_add_co_u32 v1, s4, s4, s12
	s_cmp_lg_u32 s4, 0
	s_add_co_ci_u32 s17, s5, s13
	s_delay_alu instid0(VALU_DEP_1) | instskip(SKIP_3) | instid1(VALU_DEP_1)
	v_readfirstlane_b32 s16, v1
	s_mul_hi_u32 s5, s14, s17
	s_mul_i32 s4, s14, s17
	s_mov_b32 s13, s3
	s_mul_hi_u32 s12, s14, s16
	s_wait_alu 0xfffe
	s_add_nc_u64 s[4:5], s[12:13], s[4:5]
	s_mul_i32 s13, s15, s16
	s_mul_hi_u32 s16, s15, s16
	s_mul_hi_u32 s12, s15, s17
	s_wait_alu 0xfffe
	s_add_co_u32 s4, s4, s13
	s_add_co_ci_u32 s4, s5, s16
	s_add_co_ci_u32 s13, s12, 0
	s_mul_i32 s12, s15, s17
	s_mov_b32 s5, s3
	s_wait_alu 0xfffe
	s_add_nc_u64 s[4:5], s[4:5], s[12:13]
	s_wait_alu 0xfffe
	s_mul_u64 s[12:13], s[4:5], 5
	s_wait_alu 0xfffe
	v_sub_co_u32 v1, s12, s14, s12
	s_delay_alu instid0(VALU_DEP_1) | instskip(SKIP_1) | instid1(VALU_DEP_1)
	s_cmp_lg_u32 s12, 0
	s_sub_co_ci_u32 s16, s15, s13
	v_sub_co_u32 v2, s14, v1, 5
	s_delay_alu instid0(VALU_DEP_1) | instskip(SKIP_2) | instid1(VALU_DEP_2)
	s_cmp_lg_u32 s14, 0
	v_readfirstlane_b32 s18, v1
	s_sub_co_ci_u32 s14, s16, 0
	v_readfirstlane_b32 s12, v2
	s_delay_alu instid0(VALU_DEP_1)
	s_cmp_gt_u32 s12, 4
	s_add_nc_u64 s[12:13], s[4:5], 1
	s_cselect_b32 s17, -1, 0
	s_wait_alu 0xfffe
	s_cmp_eq_u32 s14, 0
	s_add_nc_u64 s[14:15], s[4:5], 2
	s_cselect_b32 s17, s17, -1
	s_delay_alu instid0(SALU_CYCLE_1)
	s_cmp_lg_u32 s17, 0
	s_wait_alu 0xfffe
	s_cselect_b32 s12, s14, s12
	s_cselect_b32 s13, s15, s13
	s_cmp_gt_u32 s18, 4
	s_cselect_b32 s14, -1, 0
	s_cmp_eq_u32 s16, 0
	s_wait_alu 0xfffe
	s_cselect_b32 s14, s14, -1
	s_wait_alu 0xfffe
	s_cmp_lg_u32 s14, 0
	s_cselect_b32 s5, s13, s5
	s_cselect_b32 s4, s12, s4
	s_wait_alu 0xfffe
	s_add_nc_u64 s[30:31], s[4:5], 1
	s_delay_alu instid0(SALU_CYCLE_1) | instskip(NEXT) | instid1(VALU_DEP_1)
	v_cmp_lt_u64_e64 s4, s[2:3], s[30:31]
	s_and_b32 vcc_lo, exec_lo, s4
	s_cbranch_vccnz .LBB0_4
; %bb.3:
	v_cvt_f32_u32_e32 v1, s30
	s_sub_co_i32 s5, 0, s30
	s_mov_b32 s21, s3
	s_delay_alu instid0(VALU_DEP_1) | instskip(NEXT) | instid1(TRANS32_DEP_1)
	v_rcp_iflag_f32_e32 v1, v1
	v_mul_f32_e32 v1, 0x4f7ffffe, v1
	s_delay_alu instid0(VALU_DEP_1) | instskip(NEXT) | instid1(VALU_DEP_1)
	v_cvt_u32_f32_e32 v1, v1
	v_readfirstlane_b32 s4, v1
	s_wait_alu 0xfffe
	s_delay_alu instid0(VALU_DEP_1)
	s_mul_i32 s5, s5, s4
	s_wait_alu 0xfffe
	s_mul_hi_u32 s5, s4, s5
	s_wait_alu 0xfffe
	s_add_co_i32 s4, s4, s5
	s_wait_alu 0xfffe
	s_mul_hi_u32 s4, s2, s4
	s_wait_alu 0xfffe
	s_mul_i32 s5, s4, s30
	s_add_co_i32 s12, s4, 1
	s_wait_alu 0xfffe
	s_sub_co_i32 s5, s2, s5
	s_wait_alu 0xfffe
	s_sub_co_i32 s13, s5, s30
	s_cmp_ge_u32 s5, s30
	s_cselect_b32 s4, s12, s4
	s_wait_alu 0xfffe
	s_cselect_b32 s5, s13, s5
	s_add_co_i32 s12, s4, 1
	s_wait_alu 0xfffe
	s_cmp_ge_u32 s5, s30
	s_cselect_b32 s20, s12, s4
.LBB0_4:
	s_load_b128 s[16:19], s[10:11], 0x0
	s_load_b128 s[12:15], s[24:25], 0x0
	s_load_b64 s[34:35], s[0:1], 0x0
	v_cmp_lt_u64_e64 s28, s[6:7], 3
	s_mul_u64 s[4:5], s[20:21], s[30:31]
	s_wait_alu 0xfffe
	s_sub_nc_u64 s[4:5], s[2:3], s[4:5]
	s_wait_alu 0xfffe
	s_mul_u64 s[22:23], s[4:5], 5
	s_and_b32 vcc_lo, exec_lo, s28
	s_wait_kmcnt 0x0
	s_mul_u64 s[28:29], s[18:19], s[22:23]
	s_mul_u64 s[4:5], s[14:15], s[22:23]
	s_cbranch_vccnz .LBB0_14
; %bb.5:
	s_add_nc_u64 s[36:37], s[24:25], 16
	s_add_nc_u64 s[38:39], s[10:11], 16
	s_add_nc_u64 s[8:9], s[8:9], 16
	s_mov_b64 s[40:41], 2
	s_mov_b32 s42, 0
.LBB0_6:                                ; =>This Inner Loop Header: Depth=1
	s_load_b64 s[44:45], s[8:9], 0x0
                                        ; implicit-def: $sgpr48_sgpr49
	s_wait_kmcnt 0x0
	s_or_b64 s[46:47], s[20:21], s[44:45]
	s_delay_alu instid0(SALU_CYCLE_1)
	s_mov_b32 s43, s47
	s_mov_b32 s47, -1
	s_cmp_lg_u64 s[42:43], 0
	s_cbranch_scc0 .LBB0_8
; %bb.7:                                ;   in Loop: Header=BB0_6 Depth=1
	s_cvt_f32_u32 s33, s44
	s_cvt_f32_u32 s43, s45
	s_sub_nc_u64 s[50:51], 0, s[44:45]
	s_mov_b32 s47, 0
	s_mov_b32 s55, s42
	s_wait_alu 0xfffe
	s_fmamk_f32 s33, s43, 0x4f800000, s33
	s_wait_alu 0xfffe
	s_delay_alu instid0(SALU_CYCLE_2) | instskip(NEXT) | instid1(TRANS32_DEP_1)
	v_s_rcp_f32 s33, s33
	s_mul_f32 s33, s33, 0x5f7ffffc
	s_wait_alu 0xfffe
	s_delay_alu instid0(SALU_CYCLE_2) | instskip(NEXT) | instid1(SALU_CYCLE_3)
	s_mul_f32 s43, s33, 0x2f800000
	s_trunc_f32 s43, s43
	s_delay_alu instid0(SALU_CYCLE_3) | instskip(SKIP_2) | instid1(SALU_CYCLE_1)
	s_fmamk_f32 s33, s43, 0xcf800000, s33
	s_cvt_u32_f32 s49, s43
	s_wait_alu 0xfffe
	s_cvt_u32_f32 s48, s33
	s_wait_alu 0xfffe
	s_delay_alu instid0(SALU_CYCLE_2)
	s_mul_u64 s[52:53], s[50:51], s[48:49]
	s_wait_alu 0xfffe
	s_mul_hi_u32 s57, s48, s53
	s_mul_i32 s56, s48, s53
	s_mul_hi_u32 s46, s48, s52
	s_mul_i32 s43, s49, s52
	s_add_nc_u64 s[56:57], s[46:47], s[56:57]
	s_mul_hi_u32 s33, s49, s52
	s_mul_hi_u32 s58, s49, s53
	s_add_co_u32 s43, s56, s43
	s_wait_alu 0xfffe
	s_add_co_ci_u32 s54, s57, s33
	s_mul_i32 s52, s49, s53
	s_add_co_ci_u32 s53, s58, 0
	s_wait_alu 0xfffe
	s_add_nc_u64 s[52:53], s[54:55], s[52:53]
	s_wait_alu 0xfffe
	v_add_co_u32 v1, s33, s48, s52
	s_delay_alu instid0(VALU_DEP_1) | instskip(SKIP_1) | instid1(VALU_DEP_1)
	s_cmp_lg_u32 s33, 0
	s_add_co_ci_u32 s49, s49, s53
	v_readfirstlane_b32 s48, v1
	s_mov_b32 s53, s42
	s_wait_alu 0xfffe
	s_delay_alu instid0(VALU_DEP_1)
	s_mul_u64 s[50:51], s[50:51], s[48:49]
	s_wait_alu 0xfffe
	s_mul_hi_u32 s55, s48, s51
	s_mul_i32 s54, s48, s51
	s_mul_hi_u32 s46, s48, s50
	s_mul_i32 s43, s49, s50
	s_add_nc_u64 s[54:55], s[46:47], s[54:55]
	s_mul_hi_u32 s33, s49, s50
	s_mul_hi_u32 s48, s49, s51
	s_add_co_u32 s43, s54, s43
	s_wait_alu 0xfffe
	s_add_co_ci_u32 s52, s55, s33
	s_mul_i32 s50, s49, s51
	s_add_co_ci_u32 s51, s48, 0
	s_wait_alu 0xfffe
	s_add_nc_u64 s[50:51], s[52:53], s[50:51]
	s_wait_alu 0xfffe
	v_add_co_u32 v1, s33, v1, s50
	s_delay_alu instid0(VALU_DEP_1) | instskip(SKIP_1) | instid1(VALU_DEP_1)
	s_cmp_lg_u32 s33, 0
	s_add_co_ci_u32 s33, s49, s51
	v_readfirstlane_b32 s43, v1
	s_wait_alu 0xfffe
	s_mul_hi_u32 s49, s20, s33
	s_mul_i32 s48, s20, s33
	s_mul_hi_u32 s51, s21, s33
	s_mul_i32 s50, s21, s33
	;; [unrolled: 2-line block ×3, first 2 shown]
	s_wait_alu 0xfffe
	s_add_nc_u64 s[48:49], s[46:47], s[48:49]
	s_mul_hi_u32 s43, s21, s43
	s_wait_alu 0xfffe
	s_add_co_u32 s33, s48, s33
	s_add_co_ci_u32 s52, s49, s43
	s_add_co_ci_u32 s51, s51, 0
	s_wait_alu 0xfffe
	s_add_nc_u64 s[48:49], s[52:53], s[50:51]
	s_wait_alu 0xfffe
	s_mul_u64 s[50:51], s[44:45], s[48:49]
	s_add_nc_u64 s[52:53], s[48:49], 1
	s_wait_alu 0xfffe
	v_sub_co_u32 v1, s33, s20, s50
	s_sub_co_i32 s43, s21, s51
	s_cmp_lg_u32 s33, 0
	s_add_nc_u64 s[54:55], s[48:49], 2
	s_delay_alu instid0(VALU_DEP_1) | instskip(SKIP_2) | instid1(VALU_DEP_1)
	v_sub_co_u32 v2, s46, v1, s44
	s_sub_co_ci_u32 s43, s43, s45
	s_cmp_lg_u32 s46, 0
	v_readfirstlane_b32 s46, v2
	s_sub_co_ci_u32 s43, s43, 0
	s_delay_alu instid0(SALU_CYCLE_1) | instskip(SKIP_1) | instid1(VALU_DEP_1)
	s_cmp_ge_u32 s43, s45
	s_cselect_b32 s50, -1, 0
	s_cmp_ge_u32 s46, s44
	s_cselect_b32 s46, -1, 0
	s_cmp_eq_u32 s43, s45
	s_wait_alu 0xfffe
	s_cselect_b32 s43, s46, s50
	s_delay_alu instid0(SALU_CYCLE_1)
	s_cmp_lg_u32 s43, 0
	s_cselect_b32 s43, s54, s52
	s_cselect_b32 s46, s55, s53
	s_cmp_lg_u32 s33, 0
	v_readfirstlane_b32 s33, v1
	s_sub_co_ci_u32 s50, s21, s51
	s_wait_alu 0xfffe
	s_cmp_ge_u32 s50, s45
	s_cselect_b32 s51, -1, 0
	s_cmp_ge_u32 s33, s44
	s_cselect_b32 s33, -1, 0
	s_cmp_eq_u32 s50, s45
	s_wait_alu 0xfffe
	s_cselect_b32 s33, s33, s51
	s_wait_alu 0xfffe
	s_cmp_lg_u32 s33, 0
	s_cselect_b32 s49, s46, s49
	s_cselect_b32 s48, s43, s48
.LBB0_8:                                ;   in Loop: Header=BB0_6 Depth=1
	s_and_not1_b32 vcc_lo, exec_lo, s47
	s_cbranch_vccnz .LBB0_10
; %bb.9:                                ;   in Loop: Header=BB0_6 Depth=1
	v_cvt_f32_u32_e32 v1, s44
	s_sub_co_i32 s43, 0, s44
	s_mov_b32 s49, s42
	s_delay_alu instid0(VALU_DEP_1) | instskip(NEXT) | instid1(TRANS32_DEP_1)
	v_rcp_iflag_f32_e32 v1, v1
	v_mul_f32_e32 v1, 0x4f7ffffe, v1
	s_delay_alu instid0(VALU_DEP_1) | instskip(NEXT) | instid1(VALU_DEP_1)
	v_cvt_u32_f32_e32 v1, v1
	v_readfirstlane_b32 s33, v1
	s_delay_alu instid0(VALU_DEP_1) | instskip(NEXT) | instid1(SALU_CYCLE_1)
	s_mul_i32 s43, s43, s33
	s_mul_hi_u32 s43, s33, s43
	s_delay_alu instid0(SALU_CYCLE_1)
	s_add_co_i32 s33, s33, s43
	s_wait_alu 0xfffe
	s_mul_hi_u32 s33, s20, s33
	s_wait_alu 0xfffe
	s_mul_i32 s43, s33, s44
	s_add_co_i32 s46, s33, 1
	s_sub_co_i32 s43, s20, s43
	s_delay_alu instid0(SALU_CYCLE_1)
	s_sub_co_i32 s47, s43, s44
	s_cmp_ge_u32 s43, s44
	s_cselect_b32 s33, s46, s33
	s_cselect_b32 s43, s47, s43
	s_wait_alu 0xfffe
	s_add_co_i32 s46, s33, 1
	s_cmp_ge_u32 s43, s44
	s_cselect_b32 s48, s46, s33
.LBB0_10:                               ;   in Loop: Header=BB0_6 Depth=1
	s_load_b64 s[46:47], s[38:39], 0x0
	s_load_b64 s[50:51], s[36:37], 0x0
	s_add_nc_u64 s[40:41], s[40:41], 1
	s_mul_u64 s[30:31], s[44:45], s[30:31]
	s_wait_alu 0xfffe
	v_cmp_ge_u64_e64 s33, s[40:41], s[6:7]
	s_mul_u64 s[44:45], s[48:49], s[44:45]
	s_add_nc_u64 s[36:37], s[36:37], 8
	s_wait_alu 0xfffe
	s_sub_nc_u64 s[20:21], s[20:21], s[44:45]
	s_add_nc_u64 s[38:39], s[38:39], 8
	s_add_nc_u64 s[8:9], s[8:9], 8
	s_and_b32 vcc_lo, exec_lo, s33
	s_wait_kmcnt 0x0
	s_wait_alu 0xfffe
	s_mul_u64 s[44:45], s[46:47], s[20:21]
	s_mul_u64 s[20:21], s[50:51], s[20:21]
	s_wait_alu 0xfffe
	s_add_nc_u64 s[28:29], s[44:45], s[28:29]
	s_add_nc_u64 s[4:5], s[20:21], s[4:5]
	s_cbranch_vccnz .LBB0_12
; %bb.11:                               ;   in Loop: Header=BB0_6 Depth=1
	s_mov_b64 s[20:21], s[48:49]
	s_branch .LBB0_6
.LBB0_12:
	v_cmp_lt_u64_e64 s3, s[2:3], s[30:31]
	s_mov_b64 s[20:21], 0
	s_delay_alu instid0(VALU_DEP_1)
	s_and_b32 vcc_lo, exec_lo, s3
	s_cbranch_vccnz .LBB0_14
; %bb.13:
	v_cvt_f32_u32_e32 v1, s30
	s_sub_co_i32 s8, 0, s30
	s_mov_b32 s21, 0
	s_delay_alu instid0(VALU_DEP_1) | instskip(NEXT) | instid1(TRANS32_DEP_1)
	v_rcp_iflag_f32_e32 v1, v1
	v_mul_f32_e32 v1, 0x4f7ffffe, v1
	s_delay_alu instid0(VALU_DEP_1) | instskip(NEXT) | instid1(VALU_DEP_1)
	v_cvt_u32_f32_e32 v1, v1
	v_readfirstlane_b32 s3, v1
	s_delay_alu instid0(VALU_DEP_1) | instskip(NEXT) | instid1(SALU_CYCLE_1)
	s_mul_i32 s8, s8, s3
	s_mul_hi_u32 s8, s3, s8
	s_delay_alu instid0(SALU_CYCLE_1) | instskip(SKIP_4) | instid1(SALU_CYCLE_1)
	s_add_co_i32 s3, s3, s8
	s_wait_alu 0xfffe
	s_mul_hi_u32 s3, s2, s3
	s_wait_alu 0xfffe
	s_mul_i32 s8, s3, s30
	s_sub_co_i32 s2, s2, s8
	s_add_co_i32 s8, s3, 1
	s_wait_alu 0xfffe
	s_sub_co_i32 s9, s2, s30
	s_cmp_ge_u32 s2, s30
	s_cselect_b32 s3, s8, s3
	s_cselect_b32 s2, s9, s2
	s_wait_alu 0xfffe
	s_add_co_i32 s8, s3, 1
	s_cmp_ge_u32 s2, s30
	s_cselect_b32 s20, s8, s3
.LBB0_14:
	v_mul_hi_u32 v30, 0x33333334, v0
	s_load_b128 s[0:3], s[0:1], 0x60
	s_lshl_b64 s[8:9], s[6:7], 3
	s_add_nc_u64 s[6:7], s[22:23], 5
	s_wait_alu 0xfffe
	v_cmp_le_u64_e64 s30, s[6:7], s[26:27]
	s_delay_alu instid0(VALU_DEP_2)
	v_mul_u32_u24_e32 v1, 5, v30
	v_add_nc_u32_e32 v29, 49, v30
	v_add_nc_u32_e32 v28, 0x62, v30
	;; [unrolled: 1-line block ×4, first 2 shown]
	v_sub_nc_u32_e32 v31, v0, v1
	v_dual_mov_b32 v1, 0 :: v_dual_lshlrev_b32 v32, 4, v30
	v_add_nc_u32_e32 v25, 0xf5, v30
	v_add_nc_u32_e32 v24, 0x126, v30
	s_delay_alu instid0(VALU_DEP_4) | instskip(SKIP_4) | instid1(VALU_DEP_2)
	v_add_co_u32 v2, s6, s22, v31
	s_wait_alu 0xf1ff
	v_add_co_ci_u32_e64 v3, null, s23, 0, s6
	v_mul_lo_u32 v33, 0x1570, v31
	s_add_nc_u64 s[6:7], s[24:25], s[8:9]
	v_cmp_gt_u64_e32 vcc_lo, s[26:27], v[2:3]
	s_or_b32 s33, s30, vcc_lo
	s_wait_alu 0xfffe
	s_and_saveexec_b32 s24, s33
	s_cbranch_execz .LBB0_16
; %bb.15:
	v_mad_co_u64_u32 v[2:3], null, s18, v31, 0
	v_mad_co_u64_u32 v[4:5], null, s16, v30, 0
	;; [unrolled: 1-line block ×3, first 2 shown]
	s_add_nc_u64 s[8:9], s[10:11], s[8:9]
	v_mad_co_u64_u32 v[10:11], null, s16, v28, 0
	s_load_b64 s[8:9], s[8:9], 0x0
	s_delay_alu instid0(VALU_DEP_3) | instskip(NEXT) | instid1(VALU_DEP_3)
	v_mad_co_u64_u32 v[8:9], null, s19, v31, v[3:4]
	v_mov_b32_e32 v3, v7
	s_delay_alu instid0(VALU_DEP_4) | instskip(SKIP_2) | instid1(VALU_DEP_3)
	v_mad_co_u64_u32 v[12:13], null, s17, v30, v[5:6]
	s_lshl_b64 s[10:11], s[28:29], 4
	v_mad_co_u64_u32 v[16:17], null, s16, v25, 0
	v_mad_co_u64_u32 v[13:14], null, s17, v29, v[3:4]
	;; [unrolled: 1-line block ×3, first 2 shown]
	s_delay_alu instid0(VALU_DEP_4) | instskip(NEXT) | instid1(VALU_DEP_3)
	v_mov_b32_e32 v5, v12
	v_mov_b32_e32 v7, v13
	v_mad_co_u64_u32 v[12:13], null, s16, v27, 0
	v_mov_b32_e32 v3, v8
	s_wait_kmcnt 0x0
	s_mul_u64 s[8:9], s[8:9], s[20:21]
	v_mov_b32_e32 v8, v11
	s_lshl_b64 s[8:9], s[8:9], 4
	v_lshlrev_b64_e32 v[2:3], 4, v[2:3]
	s_add_nc_u64 s[0:1], s[0:1], s[8:9]
	s_delay_alu instid0(SALU_CYCLE_1)
	s_add_nc_u64 s[0:1], s[0:1], s[10:11]
	s_delay_alu instid0(VALU_DEP_1) | instid1(SALU_CYCLE_1)
	v_add_co_u32 v36, vcc_lo, s0, v2
	s_delay_alu instid0(VALU_DEP_2) | instskip(SKIP_3) | instid1(VALU_DEP_3)
	v_add_co_ci_u32_e32 v37, vcc_lo, s1, v3, vcc_lo
	v_lshlrev_b64_e32 v[2:3], 4, v[4:5]
	v_lshlrev_b64_e32 v[4:5], 4, v[6:7]
	v_mad_co_u64_u32 v[6:7], null, s17, v28, v[8:9]
	v_add_co_u32 v2, vcc_lo, v36, v2
	s_wait_alu 0xfffd
	s_delay_alu instid0(VALU_DEP_4) | instskip(NEXT) | instid1(VALU_DEP_4)
	v_add_co_ci_u32_e32 v3, vcc_lo, v37, v3, vcc_lo
	v_add_co_u32 v7, vcc_lo, v36, v4
	v_mov_b32_e32 v4, v13
	s_wait_alu 0xfffd
	v_add_co_ci_u32_e32 v8, vcc_lo, v37, v5, vcc_lo
	v_mov_b32_e32 v5, v15
	v_mov_b32_e32 v11, v6
	s_delay_alu instid0(VALU_DEP_2) | instskip(SKIP_2) | instid1(VALU_DEP_4)
	v_mad_co_u64_u32 v[18:19], null, s17, v27, v[4:5]
	v_mad_co_u64_u32 v[19:20], null, s17, v26, v[5:6]
	v_mad_co_u64_u32 v[20:21], null, s16, v24, 0
	v_lshlrev_b64_e32 v[10:11], 4, v[10:11]
	s_clause 0x1
	global_load_b128 v[2:5], v[2:3], off
	global_load_b128 v[6:9], v[7:8], off
	v_mov_b32_e32 v13, v18
	v_mad_co_u64_u32 v[17:18], null, s17, v25, v[17:18]
	v_dual_mov_b32 v15, v19 :: v_dual_mov_b32 v18, v21
	s_delay_alu instid0(VALU_DEP_3) | instskip(SKIP_1) | instid1(VALU_DEP_3)
	v_lshlrev_b64_e32 v[12:13], 4, v[12:13]
	v_add_co_u32 v10, vcc_lo, v36, v10
	v_lshlrev_b64_e32 v[14:15], 4, v[14:15]
	s_delay_alu instid0(VALU_DEP_4)
	v_mad_co_u64_u32 v[18:19], null, s17, v24, v[18:19]
	s_wait_alu 0xfffd
	v_add_co_ci_u32_e32 v11, vcc_lo, v37, v11, vcc_lo
	v_add_co_u32 v22, vcc_lo, v36, v12
	s_wait_alu 0xfffd
	v_add_co_ci_u32_e32 v23, vcc_lo, v37, v13, vcc_lo
	s_delay_alu instid0(VALU_DEP_4)
	v_mov_b32_e32 v21, v18
	v_lshlrev_b64_e32 v[12:13], 4, v[16:17]
	v_add_co_u32 v18, vcc_lo, v36, v14
	s_wait_alu 0xfffd
	v_add_co_ci_u32_e32 v19, vcc_lo, v37, v15, vcc_lo
	v_lshlrev_b64_e32 v[14:15], 4, v[20:21]
	s_delay_alu instid0(VALU_DEP_4) | instskip(SKIP_2) | instid1(VALU_DEP_3)
	v_add_co_u32 v34, vcc_lo, v36, v12
	s_wait_alu 0xfffd
	v_add_co_ci_u32_e32 v35, vcc_lo, v37, v13, vcc_lo
	v_add_co_u32 v38, vcc_lo, v36, v14
	s_wait_alu 0xfffd
	v_add_co_ci_u32_e32 v39, vcc_lo, v37, v15, vcc_lo
	s_clause 0x4
	global_load_b128 v[10:13], v[10:11], off
	global_load_b128 v[14:17], v[22:23], off
	;; [unrolled: 1-line block ×5, first 2 shown]
	v_add3_u32 v22, 0, v33, v32
	s_wait_loadcnt 0x6
	ds_store_b128 v22, v[2:5]
	s_wait_loadcnt 0x5
	ds_store_b128 v22, v[6:9] offset:784
	s_wait_loadcnt 0x4
	ds_store_b128 v22, v[10:13] offset:1568
	;; [unrolled: 2-line block ×6, first 2 shown]
.LBB0_16:
	s_or_b32 exec_lo, exec_lo, s24
	s_wait_kmcnt 0x0
	s_mov_b32 s0, 0
	s_mov_b32 s8, 0x3330c000
	s_movk_i32 s9, 0xb3
	s_wait_alu 0xfffe
	s_mov_b32 s1, s0
	s_mov_b32 s19, s0
	s_wait_alu 0xfffe
	s_add_nc_u64 s[8:9], s[0:1], s[8:9]
	v_mul_hi_u32 v6, 0x539782a, v0
	s_add_co_i32 s9, s9, 0x33333280
	s_mov_b32 s24, 0xe976ee23
	s_mul_u64 s[10:11], s[8:9], -5
	s_mov_b32 s25, 0x3fe11646
	s_mul_hi_u32 s17, s8, s11
	s_mul_i32 s16, s8, s11
	s_mul_hi_u32 s18, s8, s10
	s_mul_hi_u32 s1, s9, s10
	s_mul_i32 s10, s9, s10
	s_wait_alu 0xfffe
	s_add_nc_u64 s[16:17], s[18:19], s[16:17]
	s_mul_hi_u32 s18, s9, s11
	s_wait_alu 0xfffe
	s_add_co_u32 s10, s16, s10
	s_add_co_ci_u32 s10, s17, s1
	s_add_co_ci_u32 s17, s18, 0
	s_mul_i32 s16, s9, s11
	s_mov_b32 s11, s0
	s_mov_b32 s28, 0xb247c609
	s_wait_alu 0xfffe
	s_add_nc_u64 s[0:1], s[10:11], s[16:17]
	s_mov_b32 s10, 0x429ad128
	s_wait_alu 0xfffe
	v_add_co_u32 v4, s0, s8, s0
	s_delay_alu instid0(VALU_DEP_1) | instskip(SKIP_4) | instid1(VALU_DEP_2)
	s_cmp_lg_u32 s0, 0
	v_add_co_u32 v35, s0, s22, v6
	s_add_co_ci_u32 s1, s9, s1
	v_add_co_ci_u32_e64 v7, null, s23, 0, s0
	s_wait_alu 0xfffe
	v_mad_co_u64_u32 v[2:3], null, v35, s1, 0
	v_mul_hi_u32 v8, v35, v4
	s_delay_alu instid0(VALU_DEP_3)
	v_mad_co_u64_u32 v[4:5], null, v7, v4, 0
	s_mov_b32 s11, 0xbfebfeb5
	s_mov_b32 s8, 0x36b3c0b5
	;; [unrolled: 1-line block ×5, first 2 shown]
	s_delay_alu instid0(VALU_DEP_2) | instskip(SKIP_3) | instid1(VALU_DEP_3)
	v_add_co_u32 v8, vcc_lo, v8, v2
	s_wait_alu 0xfffd
	v_add_co_ci_u32_e32 v9, vcc_lo, 0, v3, vcc_lo
	v_mad_co_u64_u32 v[2:3], null, v7, s1, 0
	v_add_co_u32 v4, vcc_lo, v8, v4
	s_wait_alu 0xfffd
	s_delay_alu instid0(VALU_DEP_3)
	v_add_co_ci_u32_e32 v4, vcc_lo, v9, v5, vcc_lo
	s_load_b64 s[0:1], s[6:7], 0x0
	global_wb scope:SCOPE_SE
	s_wait_dscnt 0x0
	v_add_co_ci_u32_e32 v3, vcc_lo, 0, v3, vcc_lo
	v_add_co_u32 v2, vcc_lo, v4, v2
	s_wait_kmcnt 0x0
	s_barrier_signal -1
	s_wait_alu 0xfffd
	v_add_co_ci_u32_e32 v4, vcc_lo, 0, v3, vcc_lo
	v_mad_co_u64_u32 v[2:3], null, v2, 5, 0
	s_barrier_wait -1
	global_inv scope:SCOPE_SE
	s_mov_b32 s6, 0x37e14327
	s_mov_b32 s7, 0x3fe948f6
	;; [unrolled: 1-line block ×4, first 2 shown]
	v_mad_co_u64_u32 v[3:4], null, v4, 5, v[3:4]
	v_sub_co_u32 v2, vcc_lo, v35, v2
	s_mov_b32 s19, 0x3fe77f67
	s_mov_b32 s27, 0xbfe77f67
	s_mov_b32 s31, 0x3fd5d0dc
	s_wait_alu 0xfffe
	s_mov_b32 s26, s18
	s_wait_alu 0xfffd
	v_sub_co_ci_u32_e32 v3, vcc_lo, v7, v3, vcc_lo
	v_sub_co_u32 v4, vcc_lo, v2, 5
	s_mov_b32 s30, s28
	s_wait_alu 0xfffd
	s_delay_alu instid0(VALU_DEP_2) | instskip(NEXT) | instid1(VALU_DEP_2)
	v_subrev_co_ci_u32_e32 v5, vcc_lo, 0, v3, vcc_lo
	v_cmp_lt_u32_e32 vcc_lo, 4, v4
	s_mov_b32 s22, 0x37c3f68c
	s_mov_b32 s23, 0xbfdc38aa
	s_wait_alu 0xfffd
	v_cndmask_b32_e64 v7, 0, -1, vcc_lo
	v_cmp_lt_u32_e32 vcc_lo, 4, v2
	s_wait_alu 0xfffd
	v_cndmask_b32_e64 v8, 0, -1, vcc_lo
	v_cmp_eq_u32_e32 vcc_lo, 0, v5
	s_wait_alu 0xfffd
	v_cndmask_b32_e32 v5, -1, v7, vcc_lo
	v_cmp_eq_u32_e32 vcc_lo, 0, v3
	v_add_nc_u32_e32 v7, -5, v4
	s_wait_alu 0xfffd
	v_cndmask_b32_e32 v3, -1, v8, vcc_lo
	v_cmp_ne_u32_e32 vcc_lo, 0, v5
	v_mul_u32_u24_e32 v5, 49, v6
	s_wait_alu 0xfffd
	v_cndmask_b32_e32 v4, v4, v7, vcc_lo
	v_cmp_ne_u32_e32 vcc_lo, 0, v3
	s_delay_alu instid0(VALU_DEP_3) | instskip(SKIP_1) | instid1(VALU_DEP_3)
	v_sub_nc_u32_e32 v36, v0, v5
	s_wait_alu 0xfffd
	v_cndmask_b32_e32 v2, v2, v4, vcc_lo
	s_delay_alu instid0(VALU_DEP_2) | instskip(NEXT) | instid1(VALU_DEP_2)
	v_lshlrev_b32_e32 v19, 4, v36
	v_mul_u32_u24_e32 v0, 0x157, v2
	s_delay_alu instid0(VALU_DEP_1) | instskip(SKIP_1) | instid1(VALU_DEP_2)
	v_lshlrev_b32_e32 v2, 4, v0
	v_and_b32_e32 v0, 0xff, v36
	v_add3_u32 v34, 0, v19, v2
	ds_load_b128 v[3:6], v34 offset:784
	ds_load_b128 v[7:10], v34 offset:4704
	;; [unrolled: 1-line block ×4, first 2 shown]
	v_add3_u32 v37, 0, v2, v19
	ds_load_b128 v[19:22], v34 offset:2352
	ds_load_b128 v[38:41], v34 offset:3136
	ds_load_b128 v[42:45], v37
	v_mul_lo_u16 v0, v0, 37
	global_wb scope:SCOPE_SE
	s_wait_dscnt 0x0
	s_barrier_signal -1
	s_barrier_wait -1
	global_inv scope:SCOPE_SE
	v_lshrrev_b16 v0, 8, v0
	v_add_f64_e32 v[46:47], v[3:4], v[7:8]
	v_add_f64_e32 v[48:49], v[5:6], v[9:10]
	;; [unrolled: 1-line block ×4, first 2 shown]
	v_add_f64_e64 v[11:12], v[15:16], -v[11:12]
	v_add_f64_e64 v[13:14], v[17:18], -v[13:14]
	v_add_f64_e32 v[15:16], v[19:20], v[38:39]
	v_add_f64_e32 v[17:18], v[21:22], v[40:41]
	v_add_f64_e64 v[19:20], v[38:39], -v[19:20]
	v_add_f64_e64 v[21:22], v[40:41], -v[21:22]
	;; [unrolled: 1-line block ×4, first 2 shown]
	v_add_f64_e32 v[3:4], v[50:51], v[46:47]
	v_add_f64_e32 v[5:6], v[52:53], v[48:49]
	v_add_f64_e64 v[38:39], v[46:47], -v[15:16]
	v_add_f64_e64 v[40:41], v[48:49], -v[17:18]
	;; [unrolled: 1-line block ×6, first 2 shown]
	v_add_f64_e32 v[11:12], v[19:20], v[11:12]
	v_add_f64_e32 v[13:14], v[21:22], v[13:14]
	v_add_f64_e64 v[19:20], v[7:8], -v[19:20]
	v_add_f64_e64 v[21:22], v[9:10], -v[21:22]
	v_add_f64_e32 v[62:63], v[15:16], v[3:4]
	v_add_f64_e32 v[64:65], v[17:18], v[5:6]
	v_add_f64_e64 v[15:16], v[15:16], -v[50:51]
	v_add_f64_e64 v[17:18], v[17:18], -v[52:53]
	v_mul_f64_e32 v[38:39], s[6:7], v[38:39]
	v_mul_f64_e32 v[40:41], s[6:7], v[40:41]
	;; [unrolled: 1-line block ×6, first 2 shown]
	v_add_f64_e32 v[7:8], v[11:12], v[7:8]
	v_add_f64_e32 v[9:10], v[13:14], v[9:10]
	;; [unrolled: 1-line block ×4, first 2 shown]
	v_add_f64_e64 v[42:43], v[50:51], -v[46:47]
	v_add_f64_e64 v[44:45], v[52:53], -v[48:49]
	v_mul_f64_e32 v[46:47], s[8:9], v[15:16]
	v_mul_f64_e32 v[48:49], s[8:9], v[17:18]
	v_fma_f64 v[11:12], v[15:16], s[8:9], v[38:39]
	v_fma_f64 v[13:14], v[17:18], s[8:9], v[40:41]
	;; [unrolled: 1-line block ×4, first 2 shown]
	v_fma_f64 v[50:51], v[58:59], s[10:11], -v[54:55]
	v_fma_f64 v[52:53], v[60:61], s[10:11], -v[56:57]
	s_wait_alu 0xfffe
	v_fma_f64 v[19:20], v[19:20], s[30:31], -v[66:67]
	v_fma_f64 v[21:22], v[21:22], s[30:31], -v[68:69]
	v_fma_f64 v[54:55], v[62:63], s[16:17], v[3:4]
	v_fma_f64 v[56:57], v[64:65], s[16:17], v[5:6]
	v_fma_f64 v[38:39], v[42:43], s[26:27], -v[38:39]
	v_fma_f64 v[40:41], v[44:45], s[26:27], -v[40:41]
	;; [unrolled: 1-line block ×4, first 2 shown]
	v_fma_f64 v[46:47], v[7:8], s[22:23], v[15:16]
	v_fma_f64 v[48:49], v[9:10], s[22:23], v[17:18]
	;; [unrolled: 1-line block ×6, first 2 shown]
	v_sub_nc_u16 v7, v36, v0
	s_delay_alu instid0(VALU_DEP_1) | instskip(NEXT) | instid1(VALU_DEP_1)
	v_lshrrev_b16 v7, 1, v7
	v_and_b32_e32 v7, 0x7f, v7
	s_delay_alu instid0(VALU_DEP_1) | instskip(NEXT) | instid1(VALU_DEP_1)
	v_add_nc_u16 v0, v7, v0
	v_lshrrev_b16 v23, 2, v0
	v_add_f64_e32 v[62:63], v[11:12], v[54:55]
	v_add_f64_e32 v[64:65], v[13:14], v[56:57]
	v_add_f64_e32 v[38:39], v[38:39], v[54:55]
	v_add_f64_e32 v[40:41], v[40:41], v[56:57]
	v_add_f64_e32 v[19:20], v[42:43], v[54:55]
	v_add_f64_e32 v[21:22], v[44:45], v[56:57]
	v_mul_lo_u16 v0, v23, 7
	v_and_b32_e32 v23, 0xffff, v23
	s_delay_alu instid0(VALU_DEP_2) | instskip(NEXT) | instid1(VALU_DEP_2)
	v_sub_nc_u16 v0, v36, v0
	v_mad_u32_u24 v23, 0x310, v23, 0
	s_delay_alu instid0(VALU_DEP_2) | instskip(NEXT) | instid1(VALU_DEP_1)
	v_and_b32_e32 v82, 0xff, v0
	v_mul_u32_u24_e32 v0, 6, v82
	s_delay_alu instid0(VALU_DEP_1)
	v_lshlrev_b32_e32 v0, 4, v0
	v_add_f64_e32 v[7:8], v[62:63], v[48:49]
	v_add_f64_e64 v[9:10], v[64:65], -v[46:47]
	v_add_f64_e32 v[11:12], v[38:39], v[60:61]
	v_add_f64_e64 v[13:14], v[40:41], -v[58:59]
	v_add_f64_e64 v[15:16], v[19:20], -v[52:53]
	v_add_f64_e32 v[17:18], v[50:51], v[21:22]
	v_add_f64_e32 v[19:20], v[19:20], v[52:53]
	v_add_f64_e64 v[21:22], v[21:22], -v[50:51]
	v_add_f64_e64 v[38:39], v[38:39], -v[60:61]
	v_add_f64_e32 v[40:41], v[58:59], v[40:41]
	v_add_f64_e64 v[42:43], v[62:63], -v[48:49]
	v_add_f64_e32 v[44:45], v[46:47], v[64:65]
	v_mad_i32_i24 v46, 0x60, v36, v34
	ds_store_b128 v46, v[3:6]
	ds_store_b128 v46, v[7:10] offset:16
	ds_store_b128 v46, v[11:14] offset:32
	;; [unrolled: 1-line block ×6, first 2 shown]
	global_wb scope:SCOPE_SE
	s_wait_dscnt 0x0
	s_barrier_signal -1
	s_barrier_wait -1
	global_inv scope:SCOPE_SE
	s_clause 0x5
	global_load_b128 v[3:6], v0, s[34:35]
	global_load_b128 v[7:10], v0, s[34:35] offset:16
	global_load_b128 v[11:14], v0, s[34:35] offset:80
	;; [unrolled: 1-line block ×5, first 2 shown]
	ds_load_b128 v[42:45], v34 offset:784
	ds_load_b128 v[46:49], v34 offset:1568
	;; [unrolled: 1-line block ×6, first 2 shown]
	ds_load_b128 v[66:69], v37
	v_mul_i32_i24_e32 v0, 6, v36
	global_wb scope:SCOPE_SE
	s_wait_loadcnt_dscnt 0x0
	s_barrier_signal -1
	s_barrier_wait -1
	global_inv scope:SCOPE_SE
	v_lshlrev_b64_e32 v[0:1], 4, v[0:1]
	v_mul_f64_e32 v[70:71], v[44:45], v[5:6]
	v_mul_f64_e32 v[5:6], v[42:43], v[5:6]
	;; [unrolled: 1-line block ×12, first 2 shown]
	v_fma_f64 v[42:43], v[42:43], v[3:4], v[70:71]
	v_fma_f64 v[3:4], v[44:45], v[3:4], -v[5:6]
	v_fma_f64 v[5:6], v[46:47], v[7:8], v[72:73]
	v_fma_f64 v[7:8], v[48:49], v[7:8], -v[9:10]
	;; [unrolled: 2-line block ×6, first 2 shown]
	v_add_f64_e32 v[40:41], v[42:43], v[9:10]
	v_add_f64_e32 v[44:45], v[3:4], v[11:12]
	;; [unrolled: 1-line block ×4, first 2 shown]
	v_add_f64_e64 v[5:6], v[5:6], -v[13:14]
	v_add_f64_e64 v[7:8], v[7:8], -v[15:16]
	v_add_f64_e32 v[13:14], v[17:18], v[21:22]
	v_add_f64_e32 v[15:16], v[19:20], v[38:39]
	v_add_f64_e64 v[17:18], v[21:22], -v[17:18]
	v_add_f64_e64 v[19:20], v[38:39], -v[19:20]
	;; [unrolled: 1-line block ×4, first 2 shown]
	v_add_f64_e32 v[3:4], v[46:47], v[40:41]
	v_add_f64_e32 v[21:22], v[48:49], v[44:45]
	v_add_f64_e64 v[38:39], v[40:41], -v[13:14]
	v_add_f64_e64 v[42:43], v[44:45], -v[15:16]
	;; [unrolled: 1-line block ×6, first 2 shown]
	v_add_f64_e32 v[60:61], v[17:18], v[5:6]
	v_add_f64_e32 v[7:8], v[19:20], v[7:8]
	v_add_f64_e64 v[17:18], v[9:10], -v[17:18]
	v_add_f64_e64 v[19:20], v[11:12], -v[19:20]
	;; [unrolled: 1-line block ×4, first 2 shown]
	v_add_f64_e32 v[58:59], v[13:14], v[3:4]
	v_add_f64_e32 v[21:22], v[15:16], v[21:22]
	v_add_f64_e64 v[13:14], v[13:14], -v[46:47]
	v_add_f64_e64 v[15:16], v[15:16], -v[48:49]
	v_mul_f64_e32 v[38:39], s[6:7], v[38:39]
	v_mul_f64_e32 v[42:43], s[6:7], v[42:43]
	;; [unrolled: 1-line block ×6, first 2 shown]
	v_add_f64_e32 v[9:10], v[60:61], v[9:10]
	v_add_f64_e32 v[7:8], v[7:8], v[11:12]
	;; [unrolled: 1-line block ×4, first 2 shown]
	v_mul_f64_e32 v[46:47], s[8:9], v[13:14]
	v_mul_f64_e32 v[48:49], s[8:9], v[15:16]
	v_fma_f64 v[11:12], v[13:14], s[8:9], v[38:39]
	v_fma_f64 v[13:14], v[15:16], s[8:9], v[42:43]
	;; [unrolled: 1-line block ×4, first 2 shown]
	v_fma_f64 v[50:51], v[54:55], s[10:11], -v[50:51]
	v_fma_f64 v[17:18], v[17:18], s[30:31], -v[62:63]
	;; [unrolled: 1-line block ×6, first 2 shown]
	v_fma_f64 v[54:55], v[58:59], s[16:17], v[3:4]
	v_fma_f64 v[21:22], v[21:22], s[16:17], v[5:6]
	v_fma_f64 v[40:41], v[40:41], s[18:19], -v[46:47]
	v_fma_f64 v[44:45], v[44:45], s[18:19], -v[48:49]
	v_fma_f64 v[46:47], v[9:10], s[22:23], v[15:16]
	v_fma_f64 v[48:49], v[7:8], s[22:23], v[60:61]
	;; [unrolled: 1-line block ×6, first 2 shown]
	v_add_f64_e32 v[60:61], v[11:12], v[54:55]
	v_add_f64_e32 v[62:63], v[13:14], v[21:22]
	;; [unrolled: 1-line block ×7, first 2 shown]
	v_add_f64_e64 v[9:10], v[62:63], -v[46:47]
	v_add_f64_e32 v[11:12], v[58:59], v[38:39]
	v_add_f64_e64 v[13:14], v[42:43], -v[56:57]
	v_add_f64_e64 v[15:16], v[19:20], -v[52:53]
	v_add_f64_e32 v[17:18], v[50:51], v[21:22]
	v_add_f64_e32 v[19:20], v[52:53], v[19:20]
	v_add_f64_e64 v[21:22], v[21:22], -v[50:51]
	v_add_f64_e64 v[38:39], v[38:39], -v[58:59]
	v_add_f64_e32 v[40:41], v[56:57], v[42:43]
	v_add_f64_e64 v[42:43], v[60:61], -v[48:49]
	v_add_f64_e32 v[44:45], v[46:47], v[62:63]
	v_lshlrev_b32_e32 v48, 4, v82
	v_add_co_u32 v46, vcc_lo, s34, v0
	s_wait_alu 0xfffd
	v_add_co_ci_u32_e32 v47, vcc_lo, s35, v1, vcc_lo
	s_delay_alu instid0(VALU_DEP_3)
	v_add3_u32 v0, v23, v48, v2
	ds_store_b128 v0, v[3:6]
	ds_store_b128 v0, v[7:10] offset:112
	ds_store_b128 v0, v[11:14] offset:224
	;; [unrolled: 1-line block ×6, first 2 shown]
	global_wb scope:SCOPE_SE
	s_wait_dscnt 0x0
	s_barrier_signal -1
	s_barrier_wait -1
	global_inv scope:SCOPE_SE
	s_clause 0x5
	global_load_b128 v[4:7], v[46:47], off offset:672
	global_load_b128 v[0:3], v[46:47], off offset:688
	;; [unrolled: 1-line block ×6, first 2 shown]
	ds_load_b128 v[38:41], v34 offset:784
	ds_load_b128 v[42:45], v34 offset:1568
	;; [unrolled: 1-line block ×6, first 2 shown]
	ds_load_b128 v[62:65], v37
	s_add_co_i32 s34, 0, 0x6b30
	s_wait_loadcnt_dscnt 0x506
	v_mul_f64_e32 v[66:67], v[38:39], v[6:7]
	s_wait_loadcnt_dscnt 0x405
	v_mul_f64_e32 v[68:69], v[42:43], v[2:3]
	;; [unrolled: 2-line block ×4, first 2 shown]
	v_mul_f64_e32 v[6:7], v[40:41], v[6:7]
	v_mul_f64_e32 v[2:3], v[44:45], v[2:3]
	;; [unrolled: 1-line block ×4, first 2 shown]
	s_wait_loadcnt_dscnt 0x102
	v_mul_f64_e32 v[74:75], v[56:57], v[14:15]
	s_wait_loadcnt_dscnt 0x1
	v_mul_f64_e32 v[76:77], v[60:61], v[10:11]
	v_mul_f64_e32 v[14:15], v[54:55], v[14:15]
	;; [unrolled: 1-line block ×3, first 2 shown]
	v_fma_f64 v[40:41], v[40:41], v[4:5], -v[66:67]
	v_fma_f64 v[44:45], v[44:45], v[0:1], -v[68:69]
	;; [unrolled: 1-line block ×4, first 2 shown]
	v_fma_f64 v[4:5], v[38:39], v[4:5], v[6:7]
	v_fma_f64 v[0:1], v[42:43], v[0:1], v[2:3]
	;; [unrolled: 1-line block ×4, first 2 shown]
	v_mul_lo_u32 v16, v36, v35
	v_mul_lo_u32 v51, v35, 49
	v_fma_f64 v[42:43], v[54:55], v[12:13], v[74:75]
	v_fma_f64 v[46:47], v[58:59], v[8:9], v[76:77]
	v_fma_f64 v[35:36], v[56:57], v[12:13], -v[14:15]
	v_fma_f64 v[37:38], v[60:61], v[8:9], -v[10:11]
	v_lshrrev_b32_e32 v17, 1, v16
	v_and_b32_e32 v19, 31, v16
	v_add_nc_u32_e32 v18, v16, v51
	v_lshrrev_b32_e32 v16, 6, v16
	s_delay_alu instid0(VALU_DEP_4) | instskip(NEXT) | instid1(VALU_DEP_4)
	v_and_b32_e32 v17, 0x1f0, v17
	v_lshl_add_u32 v19, v19, 4, 0
	s_delay_alu instid0(VALU_DEP_4)
	v_lshrrev_b32_e32 v20, 1, v18
	v_add_nc_u32_e32 v22, v18, v51
	v_and_b32_e32 v21, 31, v18
	s_wait_alu 0xfffe
	v_add_nc_u32_e32 v10, s34, v17
	v_and_b32_e32 v8, 0x1f0, v16
	v_and_b32_e32 v11, 0x1f0, v20
	v_lshrrev_b32_e32 v12, 1, v22
	v_lshrrev_b32_e32 v9, 6, v18
	v_and_b32_e32 v14, 31, v22
	v_add_nc_u32_e32 v15, v22, v51
	v_add_nc_u32_e32 v16, s34, v11
	v_and_b32_e32 v11, 0x1f0, v12
	v_lshl_add_u32 v13, v21, 4, 0
	v_add_nc_u32_e32 v50, s34, v8
	v_and_b32_e32 v8, 0x1f0, v9
	v_lshrrev_b32_e32 v9, 6, v22
	v_lshl_add_u32 v17, v14, 4, 0
	v_add_f64_e32 v[59:60], v[40:41], v[48:49]
	v_add_f64_e32 v[66:67], v[44:45], v[52:53]
	v_lshrrev_b32_e32 v12, 1, v15
	v_and_b32_e32 v14, 31, v15
	v_add_f64_e32 v[68:69], v[4:5], v[2:3]
	v_add_f64_e32 v[70:71], v[0:1], v[6:7]
	v_add_f64_e64 v[72:73], v[0:1], -v[6:7]
	v_add_f64_e64 v[76:77], v[4:5], -v[2:3]
	ds_load_b128 v[0:3], v19 offset:27440
	ds_load_b128 v[4:7], v10 offset:512
	v_add_nc_u32_e32 v20, s34, v11
	v_add_nc_u32_e32 v39, v15, v51
	;; [unrolled: 1-line block ×3, first 2 shown]
	v_and_b32_e32 v55, 0x1f0, v9
	v_lshrrev_b32_e32 v56, 6, v15
	v_and_b32_e32 v57, 0x1f0, v12
	v_lshl_add_u32 v58, v14, 4, 0
	ds_load_b128 v[8:11], v13 offset:27440
	ds_load_b128 v[12:15], v16 offset:512
	;; [unrolled: 1-line block ×4, first 2 shown]
	v_add_f64_e64 v[74:75], v[46:47], -v[42:43]
	v_add_f64_e32 v[78:79], v[35:36], v[37:38]
	v_add_f64_e64 v[80:81], v[44:45], -v[52:53]
	v_add_f64_e64 v[82:83], v[37:38], -v[35:36]
	;; [unrolled: 1-line block ×3, first 2 shown]
	v_add_f64_e32 v[88:89], v[42:43], v[46:47]
	v_lshrrev_b32_e32 v61, 1, v39
	v_and_b32_e32 v96, 31, v39
	v_add_nc_u32_e32 v98, v39, v51
	v_add_nc_u32_e32 v52, s34, v55
	s_wait_dscnt 0x4
	v_mul_f64_e32 v[92:93], v[2:3], v[6:7]
	v_mul_f64_e32 v[6:7], v[0:1], v[6:7]
	v_lshrrev_b32_e32 v55, 6, v39
	v_add_nc_u32_e32 v39, s34, v57
	v_and_b32_e32 v53, 0x1f0, v56
	v_and_b32_e32 v56, 0x1f0, v61
	ds_load_b128 v[35:38], v58 offset:27440
	v_lshl_add_u32 v61, v96, 4, 0
	ds_load_b128 v[39:42], v39 offset:512
	s_wait_dscnt 0x4
	v_mul_f64_e32 v[94:95], v[10:11], v[14:15]
	v_mul_f64_e32 v[14:15], v[8:9], v[14:15]
	v_add_f64_e32 v[84:85], v[66:67], v[59:60]
	s_wait_dscnt 0x2
	v_mul_f64_e32 v[96:97], v[18:19], v[22:23]
	v_mul_f64_e32 v[22:23], v[16:17], v[22:23]
	v_add_nc_u32_e32 v126, v98, v51
	v_add_f64_e32 v[90:91], v[70:71], v[68:69]
	ds_load_b128 v[43:46], v50 offset:1024
	ds_load_b128 v[47:50], v54 offset:1024
	v_lshrrev_b32_e32 v54, 1, v98
	v_and_b32_e32 v110, 31, v98
	v_lshrrev_b32_e32 v111, 6, v98
	v_lshrrev_b32_e32 v114, 1, v126
	v_add_nc_u32_e32 v57, s34, v53
	v_and_b32_e32 v113, 0x1f0, v54
	v_lshl_add_u32 v116, v110, 4, 0
	v_and_b32_e32 v110, 31, v126
	v_and_b32_e32 v121, 0x1f0, v111
	;; [unrolled: 1-line block ×3, first 2 shown]
	v_add_nc_u32_e32 v112, s34, v56
	v_add_f64_e64 v[98:99], v[74:75], -v[72:73]
	v_add_f64_e64 v[100:101], v[72:73], -v[76:77]
	v_and_b32_e32 v120, 0x1f0, v55
	ds_load_b128 v[51:54], v52 offset:1024
	ds_load_b128 v[55:58], v57 offset:1024
	s_wait_dscnt 0x4
	v_mul_f64_e32 v[102:103], v[37:38], v[41:42]
	v_add_f64_e64 v[104:105], v[59:60], -v[78:79]
	v_add_f64_e64 v[106:107], v[78:79], -v[66:67]
	v_mul_f64_e32 v[41:42], v[35:36], v[41:42]
	v_add_f64_e64 v[108:109], v[82:83], -v[80:81]
	v_add_nc_u32_e32 v117, s34, v113
	v_add_f64_e32 v[72:73], v[74:75], v[72:73]
	v_lshl_add_u32 v122, v110, 4, 0
	v_add_nc_u32_e32 v123, s34, v111
	v_fma_f64 v[92:93], v[0:1], v[4:5], -v[92:93]
	v_fma_f64 v[110:111], v[2:3], v[4:5], v[6:7]
	ds_load_b128 v[0:3], v61 offset:27440
	ds_load_b128 v[4:7], v112 offset:512
	v_add_f64_e64 v[112:113], v[68:69], -v[88:89]
	v_add_nc_u32_e32 v61, s34, v120
	v_add_nc_u32_e32 v124, s34, v121
	v_fma_f64 v[94:95], v[8:9], v[12:13], -v[94:95]
	v_fma_f64 v[114:115], v[10:11], v[12:13], v[14:15]
	v_add_f64_e32 v[78:79], v[78:79], v[84:85]
	v_add_f64_e64 v[84:85], v[80:81], -v[86:87]
	v_add_f64_e32 v[80:81], v[82:83], v[80:81]
	ds_load_b128 v[8:11], v116 offset:27440
	ds_load_b128 v[12:15], v117 offset:512
	v_add_f64_e32 v[90:91], v[88:89], v[90:91]
	v_add_f64_e64 v[88:89], v[88:89], -v[70:71]
	v_fma_f64 v[96:97], v[16:17], v[20:21], -v[96:97]
	v_fma_f64 v[116:117], v[18:19], v[20:21], v[22:23]
	ds_load_b128 v[16:19], v122 offset:27440
	ds_load_b128 v[20:23], v123 offset:512
	v_add_f64_e64 v[74:75], v[76:77], -v[74:75]
	v_add_f64_e64 v[59:60], v[66:67], -v[59:60]
	;; [unrolled: 1-line block ×4, first 2 shown]
	v_mul_f64_e32 v[98:99], s[24:25], v[98:99]
	v_mul_f64_e32 v[118:119], s[10:11], v[100:101]
	v_fma_f64 v[102:103], v[35:36], v[39:40], -v[102:103]
	v_mul_f64_e32 v[66:67], s[6:7], v[104:105]
	v_mul_f64_e32 v[104:105], s[8:9], v[106:107]
	v_fma_f64 v[120:121], v[37:38], v[39:40], v[41:42]
	v_mul_f64_e32 v[108:109], s[24:25], v[108:109]
	ds_load_b128 v[35:38], v61 offset:1024
	ds_load_b128 v[39:42], v124 offset:1024
	s_wait_dscnt 0x6
	v_mul_f64_e32 v[124:125], v[2:3], v[6:7]
	s_wait_dscnt 0x4
	v_mul_f64_e32 v[70:71], v[10:11], v[14:15]
	v_add_f64_e32 v[72:73], v[72:73], v[76:77]
	s_wait_dscnt 0x2
	v_mul_f64_e32 v[76:77], v[18:19], v[22:23]
	v_mul_f64_e32 v[6:7], v[0:1], v[6:7]
	;; [unrolled: 1-line block ×5, first 2 shown]
	v_add_f64_e32 v[64:65], v[64:65], v[78:79]
	v_mul_f64_e32 v[122:123], s[10:11], v[84:85]
	v_add_f64_e32 v[80:81], v[80:81], v[86:87]
	v_add_f64_e32 v[61:62], v[62:63], v[90:91]
	v_mul_f64_e32 v[86:87], s[8:9], v[88:89]
	v_lshrrev_b32_e32 v63, 6, v126
	v_fma_f64 v[100:101], v[100:101], s[10:11], -v[98:99]
	v_fma_f64 v[98:99], v[74:75], s[28:29], v[98:99]
	v_fma_f64 v[74:75], v[74:75], s[30:31], -v[118:119]
	v_fma_f64 v[106:107], v[106:107], s[8:9], v[66:67]
	v_fma_f64 v[104:105], v[59:60], s[18:19], -v[104:105]
	v_fma_f64 v[59:60], v[59:60], s[26:27], -v[66:67]
	v_fma_f64 v[66:67], v[84:85], s[10:11], -v[108:109]
	v_fma_f64 v[8:9], v[8:9], v[12:13], -v[70:71]
	v_fma_f64 v[16:17], v[16:17], v[20:21], -v[76:77]
	v_fma_f64 v[70:71], v[88:89], s[8:9], v[112:113]
	v_fma_f64 v[88:89], v[68:69], s[26:27], -v[112:113]
	v_fma_f64 v[76:77], v[78:79], s[16:17], v[64:65]
	v_fma_f64 v[84:85], v[82:83], s[30:31], -v[122:123]
	;; [unrolled: 2-line block ×4, first 2 shown]
	v_and_b32_e32 v0, 0x1f0, v63
	v_fma_f64 v[4:5], v[2:3], v[4:5], v[6:7]
	v_fma_f64 v[6:7], v[10:11], v[12:13], v[14:15]
	;; [unrolled: 1-line block ×3, first 2 shown]
	v_mul_f64_e32 v[12:13], v[92:93], v[45:46]
	v_add_nc_u32_e32 v0, s34, v0
	v_mul_f64_e32 v[14:15], v[94:95], v[49:50]
	v_mul_f64_e32 v[18:19], v[96:97], v[53:54]
	v_mul_f64_e32 v[20:21], v[102:103], v[57:58]
	v_mul_f64_e32 v[45:46], v[110:111], v[45:46]
	ds_load_b128 v[0:3], v0 offset:1024
	v_fma_f64 v[100:101], v[72:73], s[22:23], v[100:101]
	v_fma_f64 v[98:99], v[72:73], s[22:23], v[98:99]
	;; [unrolled: 1-line block ×3, first 2 shown]
	v_mul_f64_e32 v[49:50], v[114:115], v[49:50]
	v_mul_f64_e32 v[53:54], v[116:117], v[53:54]
	;; [unrolled: 1-line block ×3, first 2 shown]
	global_wb scope:SCOPE_SE
	s_wait_dscnt 0x0
	s_barrier_signal -1
	v_fma_f64 v[66:67], v[80:81], s[22:23], v[66:67]
	s_barrier_wait -1
	global_inv scope:SCOPE_SE
	v_mul_f64_e32 v[86:87], v[8:9], v[41:42]
	v_mul_f64_e32 v[90:91], v[16:17], v[2:3]
	v_add_f64_e32 v[59:60], v[59:60], v[76:77]
	v_fma_f64 v[74:75], v[80:81], s[22:23], v[84:85]
	v_fma_f64 v[80:81], v[80:81], s[22:23], v[82:83]
	v_mul_f64_e32 v[22:23], v[108:109], v[37:38]
	v_add_f64_e32 v[82:83], v[106:107], v[76:77]
	v_add_f64_e32 v[70:71], v[70:71], v[78:79]
	;; [unrolled: 1-line block ×5, first 2 shown]
	v_mul_f64_e32 v[37:38], v[4:5], v[37:38]
	v_mul_f64_e32 v[41:42], v[6:7], v[41:42]
	;; [unrolled: 1-line block ×3, first 2 shown]
	v_fma_f64 v[12:13], v[43:44], v[110:111], v[12:13]
	v_fma_f64 v[14:15], v[47:48], v[114:115], v[14:15]
	;; [unrolled: 1-line block ×4, first 2 shown]
	v_fma_f64 v[43:44], v[43:44], v[92:93], -v[45:46]
	v_fma_f64 v[45:46], v[47:48], v[94:95], -v[49:50]
	;; [unrolled: 1-line block ×4, first 2 shown]
	v_fma_f64 v[6:7], v[39:40], v[6:7], v[86:87]
	v_fma_f64 v[10:11], v[0:1], v[10:11], v[90:91]
	v_add_f64_e64 v[86:87], v[59:60], -v[72:73]
	v_add_f64_e32 v[59:60], v[72:73], v[59:60]
	v_fma_f64 v[4:5], v[35:36], v[4:5], v[22:23]
	v_add_f64_e64 v[22:23], v[82:83], -v[98:99]
	v_add_f64_e32 v[78:79], v[80:81], v[70:71]
	v_add_f64_e32 v[88:89], v[74:75], v[84:85]
	;; [unrolled: 1-line block ×3, first 2 shown]
	v_add_f64_e64 v[104:105], v[68:69], -v[66:67]
	v_add_f64_e64 v[76:77], v[76:77], -v[100:101]
	v_add_f64_e32 v[66:67], v[66:67], v[68:69]
	v_add_f64_e64 v[68:69], v[84:85], -v[74:75]
	v_add_f64_e32 v[72:73], v[98:99], v[82:83]
	v_add_f64_e64 v[70:71], v[70:71], -v[80:81]
	v_fma_f64 v[35:36], v[35:36], v[108:109], -v[37:38]
	v_fma_f64 v[37:38], v[39:40], v[8:9], -v[41:42]
	;; [unrolled: 1-line block ×3, first 2 shown]
	v_mul_f64_e32 v[0:1], v[64:65], v[12:13]
	v_mul_f64_e32 v[2:3], v[61:62], v[12:13]
	;; [unrolled: 1-line block ×14, first 2 shown]
	v_fma_f64 v[0:1], v[61:62], v[43:44], v[0:1]
	v_fma_f64 v[2:3], v[64:65], v[43:44], -v[2:3]
	v_fma_f64 v[4:5], v[78:79], v[45:46], v[8:9]
	v_fma_f64 v[6:7], v[22:23], v[45:46], -v[12:13]
	v_fma_f64 v[8:9], v[88:89], v[47:48], v[14:15]
	v_fma_f64 v[10:11], v[86:87], v[47:48], -v[16:17]
	v_fma_f64 v[12:13], v[104:105], v[49:50], v[18:19]
	v_fma_f64 v[14:15], v[90:91], v[49:50], -v[20:21]
	v_fma_f64 v[16:17], v[66:67], v[35:36], v[41:42]
	v_fma_f64 v[18:19], v[76:77], v[35:36], -v[51:52]
	v_fma_f64 v[20:21], v[68:69], v[37:38], v[53:54]
	v_fma_f64 v[22:23], v[59:60], v[37:38], -v[55:56]
	v_fma_f64 v[35:36], v[70:71], v[39:40], v[57:58]
	v_fma_f64 v[37:38], v[72:73], v[39:40], -v[74:75]
	ds_store_b128 v34, v[0:3]
	ds_store_b128 v34, v[4:7] offset:784
	ds_store_b128 v34, v[8:11] offset:1568
	;; [unrolled: 1-line block ×6, first 2 shown]
	global_wb scope:SCOPE_SE
	s_wait_dscnt 0x0
	s_barrier_signal -1
	s_barrier_wait -1
	global_inv scope:SCOPE_SE
	s_and_saveexec_b32 s6, s33
	s_cbranch_execz .LBB0_18
; %bb.17:
	v_mad_co_u64_u32 v[8:9], null, s14, v31, 0
	v_mad_co_u64_u32 v[10:11], null, s12, v30, 0
	;; [unrolled: 1-line block ×3, first 2 shown]
	s_mul_u64 s[0:1], s[0:1], s[20:21]
	v_add3_u32 v17, 0, v33, v32
	s_delay_alu instid0(VALU_DEP_4) | instskip(SKIP_2) | instid1(VALU_DEP_4)
	v_mov_b32_e32 v0, v9
	s_wait_alu 0xfffe
	s_lshl_b64 s[0:1], s[0:1], 4
	v_mov_b32_e32 v1, v11
	s_lshl_b64 s[4:5], s[4:5], 4
	s_wait_alu 0xfffe
	s_add_nc_u64 s[0:1], s[2:3], s[0:1]
	v_mad_co_u64_u32 v[20:21], null, s12, v25, 0
	v_mad_co_u64_u32 v[2:3], null, s15, v31, v[0:1]
	s_wait_alu 0xfffe
	s_add_nc_u64 s[0:1], s[0:1], s[4:5]
	s_delay_alu instid0(VALU_DEP_1)
	v_mad_co_u64_u32 v[14:15], null, s13, v30, v[1:2]
	v_mad_co_u64_u32 v[15:16], null, s12, v28, 0
	v_mov_b32_e32 v9, v2
	ds_load_b128 v[0:3], v17
	ds_load_b128 v[4:7], v17 offset:784
	v_mov_b32_e32 v11, v14
	v_mad_co_u64_u32 v[13:14], null, s13, v29, v[13:14]
	v_mov_b32_e32 v14, v16
	v_lshlrev_b64_e32 v[8:9], 4, v[8:9]
	s_delay_alu instid0(VALU_DEP_4) | instskip(SKIP_1) | instid1(VALU_DEP_2)
	v_lshlrev_b64_e32 v[10:11], 4, v[10:11]
	s_wait_alu 0xfffe
	v_add_co_u32 v31, vcc_lo, s0, v8
	s_wait_alu 0xfffd
	s_delay_alu instid0(VALU_DEP_3) | instskip(NEXT) | instid1(VALU_DEP_2)
	v_add_co_ci_u32_e32 v32, vcc_lo, s1, v9, vcc_lo
	v_add_co_u32 v8, vcc_lo, v31, v10
	s_wait_alu 0xfffd
	s_delay_alu instid0(VALU_DEP_2) | instskip(SKIP_3) | instid1(VALU_DEP_3)
	v_add_co_ci_u32_e32 v9, vcc_lo, v32, v11, vcc_lo
	v_lshlrev_b64_e32 v[10:11], 4, v[12:13]
	v_mad_co_u64_u32 v[12:13], null, s13, v28, v[14:15]
	v_mad_co_u64_u32 v[13:14], null, s12, v27, 0
	v_add_co_u32 v10, vcc_lo, v31, v10
	s_wait_alu 0xfffd
	s_delay_alu instid0(VALU_DEP_4) | instskip(NEXT) | instid1(VALU_DEP_4)
	v_add_co_ci_u32_e32 v11, vcc_lo, v32, v11, vcc_lo
	v_mov_b32_e32 v16, v12
	s_wait_dscnt 0x1
	global_store_b128 v[8:9], v[0:3], off
	s_wait_dscnt 0x0
	global_store_b128 v[10:11], v[4:7], off
	v_mov_b32_e32 v0, v14
	v_mad_co_u64_u32 v[8:9], null, s12, v26, 0
	v_lshlrev_b64_e32 v[1:2], 4, v[15:16]
	s_delay_alu instid0(VALU_DEP_1) | instskip(NEXT) | instid1(VALU_DEP_3)
	v_mad_co_u64_u32 v[3:4], null, s13, v27, v[0:1]
	v_mov_b32_e32 v0, v9
	v_mad_co_u64_u32 v[27:28], null, s12, v24, 0
	v_add_co_u32 v22, vcc_lo, v31, v1
	s_delay_alu instid0(VALU_DEP_3)
	v_mad_co_u64_u32 v[9:10], null, s13, v26, v[0:1]
	v_mov_b32_e32 v14, v3
	v_mov_b32_e32 v10, v21
	s_wait_alu 0xfffd
	v_add_co_ci_u32_e32 v23, vcc_lo, v32, v2, vcc_lo
	ds_load_b128 v[0:3], v17 offset:1568
	ds_load_b128 v[4:7], v17 offset:2352
	v_lshlrev_b64_e32 v[11:12], 4, v[13:14]
	v_mov_b32_e32 v13, v28
	v_lshlrev_b64_e32 v[29:30], 4, v[8:9]
	s_delay_alu instid0(VALU_DEP_3) | instskip(NEXT) | instid1(VALU_DEP_1)
	v_mad_co_u64_u32 v[14:15], null, s13, v25, v[10:11]
	v_mov_b32_e32 v21, v14
	s_delay_alu instid0(VALU_DEP_4)
	v_mad_co_u64_u32 v[24:25], null, s13, v24, v[13:14]
	v_add_co_u32 v25, vcc_lo, v31, v11
	s_wait_alu 0xfffd
	v_add_co_ci_u32_e32 v26, vcc_lo, v32, v12, vcc_lo
	ds_load_b128 v[8:11], v17 offset:3136
	ds_load_b128 v[12:15], v17 offset:3920
	;; [unrolled: 1-line block ×3, first 2 shown]
	v_lshlrev_b64_e32 v[20:21], 4, v[20:21]
	v_mov_b32_e32 v28, v24
	v_add_co_u32 v29, vcc_lo, v31, v29
	s_wait_alu 0xfffd
	v_add_co_ci_u32_e32 v30, vcc_lo, v32, v30, vcc_lo
	s_delay_alu instid0(VALU_DEP_3) | instskip(SKIP_3) | instid1(VALU_DEP_3)
	v_lshlrev_b64_e32 v[27:28], 4, v[27:28]
	v_add_co_u32 v20, vcc_lo, v31, v20
	s_wait_alu 0xfffd
	v_add_co_ci_u32_e32 v21, vcc_lo, v32, v21, vcc_lo
	v_add_co_u32 v27, vcc_lo, v31, v27
	s_wait_alu 0xfffd
	v_add_co_ci_u32_e32 v28, vcc_lo, v32, v28, vcc_lo
	s_wait_dscnt 0x4
	global_store_b128 v[22:23], v[0:3], off
	s_wait_dscnt 0x3
	global_store_b128 v[25:26], v[4:7], off
	;; [unrolled: 2-line block ×5, first 2 shown]
.LBB0_18:
	s_nop 0
	s_sendmsg sendmsg(MSG_DEALLOC_VGPRS)
	s_endpgm
	.section	.rodata,"a",@progbits
	.p2align	6, 0x0
	.amdhsa_kernel fft_rtc_back_len343_factors_7_7_7_wgs_245_tpt_49_dp_op_CI_CI_sbcc_twdbase5_3step
		.amdhsa_group_segment_fixed_size 0
		.amdhsa_private_segment_fixed_size 0
		.amdhsa_kernarg_size 112
		.amdhsa_user_sgpr_count 2
		.amdhsa_user_sgpr_dispatch_ptr 0
		.amdhsa_user_sgpr_queue_ptr 0
		.amdhsa_user_sgpr_kernarg_segment_ptr 1
		.amdhsa_user_sgpr_dispatch_id 0
		.amdhsa_user_sgpr_private_segment_size 0
		.amdhsa_wavefront_size32 1
		.amdhsa_uses_dynamic_stack 0
		.amdhsa_enable_private_segment 0
		.amdhsa_system_sgpr_workgroup_id_x 1
		.amdhsa_system_sgpr_workgroup_id_y 0
		.amdhsa_system_sgpr_workgroup_id_z 0
		.amdhsa_system_sgpr_workgroup_info 0
		.amdhsa_system_vgpr_workitem_id 0
		.amdhsa_next_free_vgpr 127
		.amdhsa_next_free_sgpr 59
		.amdhsa_reserve_vcc 1
		.amdhsa_float_round_mode_32 0
		.amdhsa_float_round_mode_16_64 0
		.amdhsa_float_denorm_mode_32 3
		.amdhsa_float_denorm_mode_16_64 3
		.amdhsa_fp16_overflow 0
		.amdhsa_workgroup_processor_mode 1
		.amdhsa_memory_ordered 1
		.amdhsa_forward_progress 0
		.amdhsa_round_robin_scheduling 0
		.amdhsa_exception_fp_ieee_invalid_op 0
		.amdhsa_exception_fp_denorm_src 0
		.amdhsa_exception_fp_ieee_div_zero 0
		.amdhsa_exception_fp_ieee_overflow 0
		.amdhsa_exception_fp_ieee_underflow 0
		.amdhsa_exception_fp_ieee_inexact 0
		.amdhsa_exception_int_div_zero 0
	.end_amdhsa_kernel
	.text
.Lfunc_end0:
	.size	fft_rtc_back_len343_factors_7_7_7_wgs_245_tpt_49_dp_op_CI_CI_sbcc_twdbase5_3step, .Lfunc_end0-fft_rtc_back_len343_factors_7_7_7_wgs_245_tpt_49_dp_op_CI_CI_sbcc_twdbase5_3step
                                        ; -- End function
	.section	.AMDGPU.csdata,"",@progbits
; Kernel info:
; codeLenInByte = 7472
; NumSgprs: 61
; NumVgprs: 127
; ScratchSize: 0
; MemoryBound: 0
; FloatMode: 240
; IeeeMode: 1
; LDSByteSize: 0 bytes/workgroup (compile time only)
; SGPRBlocks: 7
; VGPRBlocks: 15
; NumSGPRsForWavesPerEU: 61
; NumVGPRsForWavesPerEU: 127
; Occupancy: 10
; WaveLimiterHint : 1
; COMPUTE_PGM_RSRC2:SCRATCH_EN: 0
; COMPUTE_PGM_RSRC2:USER_SGPR: 2
; COMPUTE_PGM_RSRC2:TRAP_HANDLER: 0
; COMPUTE_PGM_RSRC2:TGID_X_EN: 1
; COMPUTE_PGM_RSRC2:TGID_Y_EN: 0
; COMPUTE_PGM_RSRC2:TGID_Z_EN: 0
; COMPUTE_PGM_RSRC2:TIDIG_COMP_CNT: 0
	.text
	.p2alignl 7, 3214868480
	.fill 96, 4, 3214868480
	.type	__hip_cuid_feb9e60dac241fde,@object ; @__hip_cuid_feb9e60dac241fde
	.section	.bss,"aw",@nobits
	.globl	__hip_cuid_feb9e60dac241fde
__hip_cuid_feb9e60dac241fde:
	.byte	0                               ; 0x0
	.size	__hip_cuid_feb9e60dac241fde, 1

	.ident	"AMD clang version 19.0.0git (https://github.com/RadeonOpenCompute/llvm-project roc-6.4.0 25133 c7fe45cf4b819c5991fe208aaa96edf142730f1d)"
	.section	".note.GNU-stack","",@progbits
	.addrsig
	.addrsig_sym __hip_cuid_feb9e60dac241fde
	.amdgpu_metadata
---
amdhsa.kernels:
  - .args:
      - .actual_access:  read_only
        .address_space:  global
        .offset:         0
        .size:           8
        .value_kind:     global_buffer
      - .address_space:  global
        .offset:         8
        .size:           8
        .value_kind:     global_buffer
      - .offset:         16
        .size:           8
        .value_kind:     by_value
      - .actual_access:  read_only
        .address_space:  global
        .offset:         24
        .size:           8
        .value_kind:     global_buffer
      - .actual_access:  read_only
        .address_space:  global
        .offset:         32
        .size:           8
        .value_kind:     global_buffer
      - .actual_access:  read_only
        .address_space:  global
        .offset:         40
        .size:           8
        .value_kind:     global_buffer
      - .offset:         48
        .size:           8
        .value_kind:     by_value
      - .actual_access:  read_only
        .address_space:  global
        .offset:         56
        .size:           8
        .value_kind:     global_buffer
      - .actual_access:  read_only
        .address_space:  global
        .offset:         64
        .size:           8
        .value_kind:     global_buffer
      - .offset:         72
        .size:           4
        .value_kind:     by_value
      - .actual_access:  read_only
        .address_space:  global
        .offset:         80
        .size:           8
        .value_kind:     global_buffer
      - .actual_access:  read_only
        .address_space:  global
        .offset:         88
        .size:           8
        .value_kind:     global_buffer
      - .actual_access:  read_only
        .address_space:  global
        .offset:         96
        .size:           8
        .value_kind:     global_buffer
      - .actual_access:  write_only
        .address_space:  global
        .offset:         104
        .size:           8
        .value_kind:     global_buffer
    .group_segment_fixed_size: 0
    .kernarg_segment_align: 8
    .kernarg_segment_size: 112
    .language:       OpenCL C
    .language_version:
      - 2
      - 0
    .max_flat_workgroup_size: 245
    .name:           fft_rtc_back_len343_factors_7_7_7_wgs_245_tpt_49_dp_op_CI_CI_sbcc_twdbase5_3step
    .private_segment_fixed_size: 0
    .sgpr_count:     61
    .sgpr_spill_count: 0
    .symbol:         fft_rtc_back_len343_factors_7_7_7_wgs_245_tpt_49_dp_op_CI_CI_sbcc_twdbase5_3step.kd
    .uniform_work_group_size: 1
    .uses_dynamic_stack: false
    .vgpr_count:     127
    .vgpr_spill_count: 0
    .wavefront_size: 32
    .workgroup_processor_mode: 1
amdhsa.target:   amdgcn-amd-amdhsa--gfx1201
amdhsa.version:
  - 1
  - 2
...

	.end_amdgpu_metadata
